;; amdgpu-corpus repo=ROCm/rocFFT kind=compiled arch=gfx906 opt=O3
	.text
	.amdgcn_target "amdgcn-amd-amdhsa--gfx906"
	.amdhsa_code_object_version 6
	.protected	fft_rtc_fwd_len650_factors_10_5_13_wgs_195_tpt_65_sp_ip_CI_unitstride_sbrr_dirReg ; -- Begin function fft_rtc_fwd_len650_factors_10_5_13_wgs_195_tpt_65_sp_ip_CI_unitstride_sbrr_dirReg
	.globl	fft_rtc_fwd_len650_factors_10_5_13_wgs_195_tpt_65_sp_ip_CI_unitstride_sbrr_dirReg
	.p2align	8
	.type	fft_rtc_fwd_len650_factors_10_5_13_wgs_195_tpt_65_sp_ip_CI_unitstride_sbrr_dirReg,@function
fft_rtc_fwd_len650_factors_10_5_13_wgs_195_tpt_65_sp_ip_CI_unitstride_sbrr_dirReg: ; @fft_rtc_fwd_len650_factors_10_5_13_wgs_195_tpt_65_sp_ip_CI_unitstride_sbrr_dirReg
; %bb.0:
	s_load_dwordx2 s[2:3], s[4:5], 0x50
	s_load_dwordx4 s[8:11], s[4:5], 0x0
	s_load_dwordx2 s[12:13], s[4:5], 0x18
	v_mul_u32_u24_e32 v1, 0x3f1, v0
	v_lshrrev_b32_e32 v1, 16, v1
	v_mad_u64_u32 v[1:2], s[0:1], s6, 3, v[1:2]
	v_mov_b32_e32 v5, 0
	s_waitcnt lgkmcnt(0)
	v_cmp_lt_u64_e64 s[0:1], s[10:11], 2
	v_mov_b32_e32 v2, v5
	v_mov_b32_e32 v3, 0
	;; [unrolled: 1-line block ×3, first 2 shown]
	s_and_b64 vcc, exec, s[0:1]
	v_mov_b32_e32 v4, 0
	v_mov_b32_e32 v9, v1
	s_cbranch_vccnz .LBB0_8
; %bb.1:
	s_load_dwordx2 s[0:1], s[4:5], 0x10
	s_add_u32 s6, s12, 8
	s_addc_u32 s7, s13, 0
	v_mov_b32_e32 v3, 0
	v_mov_b32_e32 v8, v2
	s_waitcnt lgkmcnt(0)
	s_add_u32 s16, s0, 8
	s_mov_b64 s[14:15], 1
	v_mov_b32_e32 v4, 0
	s_addc_u32 s17, s1, 0
	v_mov_b32_e32 v7, v1
.LBB0_2:                                ; =>This Inner Loop Header: Depth=1
	s_load_dwordx2 s[18:19], s[16:17], 0x0
                                        ; implicit-def: $vgpr9_vgpr10
	s_waitcnt lgkmcnt(0)
	v_or_b32_e32 v6, s19, v8
	v_cmp_ne_u64_e32 vcc, 0, v[5:6]
	s_and_saveexec_b64 s[0:1], vcc
	s_xor_b64 s[20:21], exec, s[0:1]
	s_cbranch_execz .LBB0_4
; %bb.3:                                ;   in Loop: Header=BB0_2 Depth=1
	v_cvt_f32_u32_e32 v2, s18
	v_cvt_f32_u32_e32 v6, s19
	s_sub_u32 s0, 0, s18
	s_subb_u32 s1, 0, s19
	v_mac_f32_e32 v2, 0x4f800000, v6
	v_rcp_f32_e32 v2, v2
	v_mul_f32_e32 v2, 0x5f7ffffc, v2
	v_mul_f32_e32 v6, 0x2f800000, v2
	v_trunc_f32_e32 v6, v6
	v_mac_f32_e32 v2, 0xcf800000, v6
	v_cvt_u32_f32_e32 v6, v6
	v_cvt_u32_f32_e32 v2, v2
	v_mul_lo_u32 v9, s0, v6
	v_mul_hi_u32 v10, s0, v2
	v_mul_lo_u32 v12, s1, v2
	v_mul_lo_u32 v11, s0, v2
	v_add_u32_e32 v9, v10, v9
	v_add_u32_e32 v9, v9, v12
	v_mul_hi_u32 v10, v2, v11
	v_mul_lo_u32 v12, v2, v9
	v_mul_hi_u32 v14, v2, v9
	v_mul_hi_u32 v13, v6, v11
	v_mul_lo_u32 v11, v6, v11
	v_mul_hi_u32 v15, v6, v9
	v_add_co_u32_e32 v10, vcc, v10, v12
	v_addc_co_u32_e32 v12, vcc, 0, v14, vcc
	v_mul_lo_u32 v9, v6, v9
	v_add_co_u32_e32 v10, vcc, v10, v11
	v_addc_co_u32_e32 v10, vcc, v12, v13, vcc
	v_addc_co_u32_e32 v11, vcc, 0, v15, vcc
	v_add_co_u32_e32 v9, vcc, v10, v9
	v_addc_co_u32_e32 v10, vcc, 0, v11, vcc
	v_add_co_u32_e32 v2, vcc, v2, v9
	v_addc_co_u32_e32 v6, vcc, v6, v10, vcc
	v_mul_lo_u32 v9, s0, v6
	v_mul_hi_u32 v10, s0, v2
	v_mul_lo_u32 v11, s1, v2
	v_mul_lo_u32 v12, s0, v2
	v_add_u32_e32 v9, v10, v9
	v_add_u32_e32 v9, v9, v11
	v_mul_lo_u32 v13, v2, v9
	v_mul_hi_u32 v14, v2, v12
	v_mul_hi_u32 v15, v2, v9
	;; [unrolled: 1-line block ×3, first 2 shown]
	v_mul_lo_u32 v12, v6, v12
	v_mul_hi_u32 v10, v6, v9
	v_add_co_u32_e32 v13, vcc, v14, v13
	v_addc_co_u32_e32 v14, vcc, 0, v15, vcc
	v_mul_lo_u32 v9, v6, v9
	v_add_co_u32_e32 v12, vcc, v13, v12
	v_addc_co_u32_e32 v11, vcc, v14, v11, vcc
	v_addc_co_u32_e32 v10, vcc, 0, v10, vcc
	v_add_co_u32_e32 v9, vcc, v11, v9
	v_addc_co_u32_e32 v10, vcc, 0, v10, vcc
	v_add_co_u32_e32 v2, vcc, v2, v9
	v_addc_co_u32_e32 v6, vcc, v6, v10, vcc
	v_mad_u64_u32 v[9:10], s[0:1], v7, v6, 0
	v_mul_hi_u32 v11, v7, v2
	v_add_co_u32_e32 v13, vcc, v11, v9
	v_addc_co_u32_e32 v14, vcc, 0, v10, vcc
	v_mad_u64_u32 v[9:10], s[0:1], v8, v2, 0
	v_mad_u64_u32 v[11:12], s[0:1], v8, v6, 0
	v_add_co_u32_e32 v2, vcc, v13, v9
	v_addc_co_u32_e32 v2, vcc, v14, v10, vcc
	v_addc_co_u32_e32 v6, vcc, 0, v12, vcc
	v_add_co_u32_e32 v2, vcc, v2, v11
	v_addc_co_u32_e32 v6, vcc, 0, v6, vcc
	v_mul_lo_u32 v11, s19, v2
	v_mul_lo_u32 v12, s18, v6
	v_mad_u64_u32 v[9:10], s[0:1], s18, v2, 0
	v_add3_u32 v10, v10, v12, v11
	v_sub_u32_e32 v11, v8, v10
	v_mov_b32_e32 v12, s19
	v_sub_co_u32_e32 v9, vcc, v7, v9
	v_subb_co_u32_e64 v11, s[0:1], v11, v12, vcc
	v_subrev_co_u32_e64 v12, s[0:1], s18, v9
	v_subbrev_co_u32_e64 v11, s[0:1], 0, v11, s[0:1]
	v_cmp_le_u32_e64 s[0:1], s19, v11
	v_cndmask_b32_e64 v13, 0, -1, s[0:1]
	v_cmp_le_u32_e64 s[0:1], s18, v12
	v_cndmask_b32_e64 v12, 0, -1, s[0:1]
	v_cmp_eq_u32_e64 s[0:1], s19, v11
	v_cndmask_b32_e64 v11, v13, v12, s[0:1]
	v_add_co_u32_e64 v12, s[0:1], 2, v2
	v_addc_co_u32_e64 v13, s[0:1], 0, v6, s[0:1]
	v_add_co_u32_e64 v14, s[0:1], 1, v2
	v_addc_co_u32_e64 v15, s[0:1], 0, v6, s[0:1]
	v_subb_co_u32_e32 v10, vcc, v8, v10, vcc
	v_cmp_ne_u32_e64 s[0:1], 0, v11
	v_cmp_le_u32_e32 vcc, s19, v10
	v_cndmask_b32_e64 v11, v15, v13, s[0:1]
	v_cndmask_b32_e64 v13, 0, -1, vcc
	v_cmp_le_u32_e32 vcc, s18, v9
	v_cndmask_b32_e64 v9, 0, -1, vcc
	v_cmp_eq_u32_e32 vcc, s19, v10
	v_cndmask_b32_e32 v9, v13, v9, vcc
	v_cmp_ne_u32_e32 vcc, 0, v9
	v_cndmask_b32_e32 v10, v6, v11, vcc
	v_cndmask_b32_e64 v6, v14, v12, s[0:1]
	v_cndmask_b32_e32 v9, v2, v6, vcc
.LBB0_4:                                ;   in Loop: Header=BB0_2 Depth=1
	s_andn2_saveexec_b64 s[0:1], s[20:21]
	s_cbranch_execz .LBB0_6
; %bb.5:                                ;   in Loop: Header=BB0_2 Depth=1
	v_cvt_f32_u32_e32 v2, s18
	s_sub_i32 s20, 0, s18
	v_rcp_iflag_f32_e32 v2, v2
	v_mul_f32_e32 v2, 0x4f7ffffe, v2
	v_cvt_u32_f32_e32 v2, v2
	v_mul_lo_u32 v6, s20, v2
	v_mul_hi_u32 v6, v2, v6
	v_add_u32_e32 v2, v2, v6
	v_mul_hi_u32 v2, v7, v2
	v_mul_lo_u32 v6, v2, s18
	v_add_u32_e32 v9, 1, v2
	v_sub_u32_e32 v6, v7, v6
	v_subrev_u32_e32 v10, s18, v6
	v_cmp_le_u32_e32 vcc, s18, v6
	v_cndmask_b32_e32 v6, v6, v10, vcc
	v_cndmask_b32_e32 v2, v2, v9, vcc
	v_add_u32_e32 v9, 1, v2
	v_cmp_le_u32_e32 vcc, s18, v6
	v_cndmask_b32_e32 v9, v2, v9, vcc
	v_mov_b32_e32 v10, v5
.LBB0_6:                                ;   in Loop: Header=BB0_2 Depth=1
	s_or_b64 exec, exec, s[0:1]
	v_mul_lo_u32 v2, v10, s18
	v_mul_lo_u32 v6, v9, s19
	v_mad_u64_u32 v[11:12], s[0:1], v9, s18, 0
	s_load_dwordx2 s[0:1], s[6:7], 0x0
	s_add_u32 s14, s14, 1
	v_add3_u32 v2, v12, v6, v2
	v_sub_co_u32_e32 v6, vcc, v7, v11
	v_subb_co_u32_e32 v2, vcc, v8, v2, vcc
	s_waitcnt lgkmcnt(0)
	v_mul_lo_u32 v2, s0, v2
	v_mul_lo_u32 v7, s1, v6
	v_mad_u64_u32 v[3:4], s[0:1], s0, v6, v[3:4]
	s_addc_u32 s15, s15, 0
	s_add_u32 s6, s6, 8
	v_add3_u32 v4, v7, v4, v2
	v_mov_b32_e32 v6, s10
	v_mov_b32_e32 v7, s11
	s_addc_u32 s7, s7, 0
	v_cmp_ge_u64_e32 vcc, s[14:15], v[6:7]
	s_add_u32 s16, s16, 8
	s_addc_u32 s17, s17, 0
	s_cbranch_vccnz .LBB0_8
; %bb.7:                                ;   in Loop: Header=BB0_2 Depth=1
	v_mov_b32_e32 v7, v9
	v_mov_b32_e32 v8, v10
	s_branch .LBB0_2
.LBB0_8:
	s_lshl_b64 s[0:1], s[10:11], 3
	s_add_u32 s0, s12, s0
	s_addc_u32 s1, s13, s1
	s_load_dwordx2 s[6:7], s[0:1], 0x0
	s_load_dwordx2 s[10:11], s[4:5], 0x20
                                        ; implicit-def: $vgpr7
                                        ; implicit-def: $vgpr13
                                        ; implicit-def: $vgpr11
                                        ; implicit-def: $vgpr15
                                        ; implicit-def: $vgpr19
                                        ; implicit-def: $vgpr21
                                        ; implicit-def: $vgpr17
	s_waitcnt lgkmcnt(0)
	v_mad_u64_u32 v[2:3], s[0:1], s6, v9, v[3:4]
	v_mul_lo_u32 v5, s6, v10
	v_mul_lo_u32 v6, s7, v9
	s_mov_b32 s0, 0x3f03f04
	v_mul_hi_u32 v4, v0, s0
	v_cmp_gt_u64_e64 s[0:1], s[10:11], v[9:10]
	v_add3_u32 v3, v6, v3, v5
	v_lshlrev_b64 v[28:29], 3, v[2:3]
	v_mul_u32_u24_e32 v4, 0x41, v4
	v_sub_u32_e32 v26, v0, v4
                                        ; implicit-def: $vgpr3
                                        ; implicit-def: $vgpr5
                                        ; implicit-def: $vgpr9
	s_and_saveexec_b64 s[4:5], s[0:1]
	s_cbranch_execz .LBB0_10
; %bb.9:
	v_mov_b32_e32 v27, 0
	v_mov_b32_e32 v0, s3
	v_add_co_u32_e32 v4, vcc, s2, v28
	v_lshlrev_b64 v[2:3], 3, v[26:27]
	v_addc_co_u32_e32 v0, vcc, v0, v29, vcc
	v_add_co_u32_e32 v22, vcc, v4, v2
	v_addc_co_u32_e32 v23, vcc, v0, v3, vcc
	v_add_co_u32_e32 v24, vcc, 0x1000, v22
	global_load_dwordx2 v[2:3], v[22:23], off
	global_load_dwordx2 v[4:5], v[22:23], off offset:520
	global_load_dwordx2 v[8:9], v[22:23], off offset:1040
	global_load_dwordx2 v[6:7], v[22:23], off offset:1560
	v_addc_co_u32_e32 v25, vcc, 0, v23, vcc
	global_load_dwordx2 v[12:13], v[22:23], off offset:2080
	global_load_dwordx2 v[10:11], v[22:23], off offset:2600
	;; [unrolled: 1-line block ×6, first 2 shown]
.LBB0_10:
	s_or_b64 exec, exec, s[4:5]
	s_mov_b32 s4, 0xaaaaaaab
	v_mul_hi_u32 v0, v1, s4
	s_waitcnt vmcnt(5)
	v_sub_f32_e32 v22, v8, v12
	s_waitcnt vmcnt(1)
	v_sub_f32_e32 v23, v20, v14
	v_add_f32_e32 v24, v22, v23
	v_lshrrev_b32_e32 v0, 1, v0
	v_lshl_add_u32 v0, v0, 1, v0
	v_sub_u32_e32 v0, v1, v0
	v_mul_u32_u24_e32 v39, 0x28a, v0
	v_add_f32_e32 v0, v2, v8
	v_add_f32_e32 v0, v0, v12
	;; [unrolled: 1-line block ×5, first 2 shown]
	v_sub_f32_e32 v1, v9, v13
	v_sub_f32_e32 v22, v21, v15
	v_fma_f32 v41, -0.5, v0, v2
	v_add_f32_e32 v0, v3, v9
	v_add_f32_e32 v25, v1, v22
	v_sub_f32_e32 v1, v6, v10
	s_waitcnt vmcnt(0)
	v_sub_f32_e32 v22, v18, v16
	v_add_f32_e32 v0, v0, v13
	v_add_f32_e32 v27, v1, v22
	v_sub_f32_e32 v1, v7, v11
	v_sub_f32_e32 v22, v19, v17
	v_add_f32_e32 v0, v0, v15
	v_add_f32_e32 v30, v1, v22
	;; [unrolled: 1-line block ×5, first 2 shown]
	v_fma_f32 v31, -0.5, v1, v4
	v_add_f32_e32 v22, v11, v17
	v_fma_f32 v46, -0.5, v0, v3
	v_add_f32_e32 v0, v4, v6
	v_sub_f32_e32 v32, v7, v19
	v_mov_b32_e32 v1, v31
	v_fma_f32 v34, -0.5, v22, v5
	v_add_f32_e32 v0, v0, v10
	v_fmac_f32_e32 v1, 0x3f737871, v32
	v_sub_f32_e32 v33, v11, v17
	v_sub_f32_e32 v35, v6, v18
	v_mov_b32_e32 v22, v34
	v_add_f32_e32 v0, v0, v16
	v_fmac_f32_e32 v1, 0x3f167918, v33
	v_fmac_f32_e32 v22, 0xbf737871, v35
	v_sub_f32_e32 v36, v10, v16
	v_sub_f32_e32 v42, v9, v21
	v_mov_b32_e32 v43, v41
	v_sub_f32_e32 v47, v8, v20
	v_mov_b32_e32 v48, v46
	v_add_f32_e32 v50, v18, v0
	v_add_f32_e32 v0, v5, v7
	v_fmac_f32_e32 v1, 0x3e9e377a, v27
	v_fmac_f32_e32 v22, 0xbf167918, v36
	;; [unrolled: 1-line block ×3, first 2 shown]
	v_sub_f32_e32 v44, v13, v15
	v_fmac_f32_e32 v48, 0xbf737871, v47
	v_sub_f32_e32 v49, v12, v14
	v_add_f32_e32 v0, v0, v11
	v_fmac_f32_e32 v22, 0x3e9e377a, v30
	v_mul_f32_e32 v37, 0x3f4f1bbd, v1
	v_mul_f32_e32 v38, 0xbf167918, v1
	v_fmac_f32_e32 v43, 0x3f167918, v44
	v_fmac_f32_e32 v48, 0xbf167918, v49
	v_add_f32_e32 v0, v0, v17
	v_lshlrev_b32_e32 v39, 3, v39
	v_fmac_f32_e32 v37, 0x3f167918, v22
	v_fmac_f32_e32 v38, 0x3f4f1bbd, v22
	;; [unrolled: 1-line block ×4, first 2 shown]
	v_add_f32_e32 v51, v19, v0
	v_mul_u32_u24_e32 v52, 10, v26
	v_add_u32_e32 v53, 0, v39
	v_add_f32_e32 v0, v40, v50
	v_add_f32_e32 v1, v45, v51
	;; [unrolled: 1-line block ×4, first 2 shown]
	v_lshl_add_u32 v52, v52, 3, v53
	v_sub_f32_e32 v10, v10, v6
	v_add_f32_e32 v6, v6, v18
	ds_write2_b64 v52, v[0:1], v[22:23] offset1:1
	v_sub_f32_e32 v0, v12, v8
	v_sub_f32_e32 v12, v14, v20
	v_sub_f32_e32 v11, v11, v7
	v_add_f32_e32 v7, v7, v19
	v_sub_f32_e32 v14, v16, v18
	v_fmac_f32_e32 v4, -0.5, v6
	v_sub_f32_e32 v1, v13, v9
	v_add_f32_e32 v8, v8, v20
	v_add_f32_e32 v9, v9, v21
	v_sub_f32_e32 v13, v15, v21
	v_sub_f32_e32 v15, v17, v19
	v_add_f32_e32 v6, v10, v14
	v_fmac_f32_e32 v5, -0.5, v7
	v_mov_b32_e32 v10, v4
	v_fmac_f32_e32 v4, 0x3f737871, v33
	v_add_f32_e32 v7, v11, v15
	v_fmac_f32_e32 v4, 0xbf167918, v32
	v_mov_b32_e32 v11, v5
	v_fmac_f32_e32 v5, 0xbf737871, v36
	v_fmac_f32_e32 v2, -0.5, v8
	v_fmac_f32_e32 v3, -0.5, v9
	v_fmac_f32_e32 v10, 0xbf737871, v33
	v_fmac_f32_e32 v4, 0x3e9e377a, v6
	;; [unrolled: 1-line block ×3, first 2 shown]
	v_add_f32_e32 v8, v0, v12
	v_add_f32_e32 v9, v1, v13
	v_mov_b32_e32 v12, v2
	v_fmac_f32_e32 v2, 0x3f737871, v44
	v_mov_b32_e32 v13, v3
	v_fmac_f32_e32 v31, 0xbf737871, v32
	v_fmac_f32_e32 v10, 0x3f167918, v32
	;; [unrolled: 1-line block ×3, first 2 shown]
	s_mov_b32 s4, 0x3f737871
	v_fmac_f32_e32 v5, 0x3e9e377a, v7
	v_mul_f32_e32 v14, 0x3e9e377a, v4
	v_fmac_f32_e32 v2, 0xbf167918, v42
	v_fmac_f32_e32 v3, 0xbf737871, v49
	;; [unrolled: 1-line block ×7, first 2 shown]
	v_fma_f32 v14, v5, s4, -v14
	v_fmac_f32_e32 v2, 0x3e9e377a, v8
	v_fmac_f32_e32 v3, 0x3f167918, v47
	;; [unrolled: 1-line block ×7, first 2 shown]
	v_mul_f32_e32 v15, 0xbf737871, v10
	s_mov_b32 s5, 0xbf737871
	v_mul_f32_e32 v5, 0x3e9e377a, v5
	v_fmac_f32_e32 v3, 0x3e9e377a, v9
	v_add_f32_e32 v0, v2, v14
	v_sub_f32_e32 v2, v2, v14
	v_fmac_f32_e32 v41, 0xbf737871, v42
	v_fmac_f32_e32 v12, 0x3f167918, v42
	;; [unrolled: 1-line block ×5, first 2 shown]
	s_mov_b32 s4, 0x3f167918
	v_mul_f32_e32 v14, 0x3f737871, v11
	v_fmac_f32_e32 v15, 0x3e9e377a, v11
	v_mul_f32_e32 v9, 0x3f4f1bbd, v31
	v_fma_f32 v4, v4, s5, -v5
	v_fmac_f32_e32 v41, 0xbf167918, v44
	v_fmac_f32_e32 v12, 0x3e9e377a, v8
	;; [unrolled: 1-line block ×3, first 2 shown]
	s_mov_b32 s5, 0xbf167918
	v_fmac_f32_e32 v14, 0x3e9e377a, v10
	v_fma_f32 v16, v34, s4, -v9
	v_add_f32_e32 v9, v13, v15
	v_sub_f32_e32 v11, v13, v15
	v_mul_f32_e32 v13, 0x3f4f1bbd, v34
	v_add_f32_e32 v1, v3, v4
	v_fmac_f32_e32 v41, 0x3e9e377a, v24
	v_fmac_f32_e32 v46, 0x3e9e377a, v25
	v_add_f32_e32 v8, v12, v14
	v_fma_f32 v15, v31, s5, -v13
	s_movk_i32 s4, 0xcd
	v_sub_f32_e32 v3, v3, v4
	v_sub_f32_e32 v4, v40, v50
	;; [unrolled: 1-line block ×6, first 2 shown]
	v_add_f32_e32 v12, v41, v16
	v_add_f32_e32 v13, v46, v15
	v_sub_f32_e32 v14, v41, v16
	v_sub_f32_e32 v15, v46, v15
	ds_write2_b64 v52, v[8:9], v[0:1] offset0:2 offset1:3
	ds_write2_b64 v52, v[12:13], v[4:5] offset0:4 offset1:5
	ds_write2_b64 v52, v[6:7], v[10:11] offset0:6 offset1:7
	ds_write2_b64 v52, v[2:3], v[14:15] offset0:8 offset1:9
	v_mul_lo_u16_sdwa v0, v26, s4 dst_sel:DWORD dst_unused:UNUSED_PAD src0_sel:BYTE_0 src1_sel:DWORD
	v_lshrrev_b16_e32 v18, 11, v0
	v_mul_lo_u16_e32 v0, 10, v18
	v_sub_u16_e32 v19, v26, v0
	v_mov_b32_e32 v4, 5
	v_add_u16_e32 v5, 0x41, v26
	v_lshlrev_b32_sdwa v16, v4, v19 dst_sel:DWORD dst_unused:UNUSED_PAD src0_sel:DWORD src1_sel:BYTE_0
	v_mul_lo_u16_sdwa v6, v5, s4 dst_sel:DWORD dst_unused:UNUSED_PAD src0_sel:BYTE_0 src1_sel:DWORD
	s_waitcnt lgkmcnt(0)
	s_barrier
	global_load_dwordx4 v[0:3], v16, s[8:9] offset:16
	v_lshrrev_b16_e32 v23, 11, v6
	v_mul_lo_u16_e32 v6, 10, v23
	v_sub_u16_e32 v24, v5, v6
	v_lshlrev_b32_sdwa v17, v4, v24 dst_sel:DWORD dst_unused:UNUSED_PAD src0_sel:DWORD src1_sel:BYTE_0
	global_load_dwordx4 v[4:7], v17, s[8:9] offset:16
	global_load_dwordx4 v[8:11], v17, s[8:9]
	global_load_dwordx4 v[12:15], v16, s[8:9]
	s_movk_i32 s4, 0xffb8
	v_mad_i32_i24 v16, v26, s4, v52
	v_add_u32_e32 v20, 0x800, v16
	ds_read2_b64 v[30:33], v20 offset0:134 offset1:199
	v_add_u32_e32 v22, 0x1000, v16
	ds_read2_b64 v[34:37], v22 offset0:8 offset1:73
	s_movk_i32 s4, 0x190
	v_lshl_add_u32 v21, v26, 3, v53
	v_cmp_gt_u32_e32 vcc, 50, v26
	s_waitcnt vmcnt(3) lgkmcnt(1)
	v_mul_f32_e32 v17, v1, v31
	v_mul_f32_e32 v27, v1, v30
	v_fma_f32 v25, v0, v30, -v17
	v_fmac_f32_e32 v27, v0, v31
	s_waitcnt lgkmcnt(0)
	v_mul_f32_e32 v0, v3, v35
	v_fma_f32 v38, v2, v34, -v0
	v_mul_f32_e32 v34, v3, v34
	s_waitcnt vmcnt(2)
	v_mul_f32_e32 v0, v33, v5
	v_fmac_f32_e32 v34, v2, v35
	v_fma_f32 v35, v32, v4, -v0
	v_mul_f32_e32 v32, v32, v5
	v_mul_f32_e32 v2, v37, v7
	v_add_u32_e32 v17, 0x400, v16
	v_fmac_f32_e32 v32, v33, v4
	ds_read2_b32 v[0:1], v17 offset0:134 offset1:135
	v_fma_f32 v33, v36, v6, -v2
	v_mul_f32_e32 v36, v36, v7
	v_fmac_f32_e32 v36, v37, v6
	ds_read2_b64 v[4:7], v20 offset0:4 offset1:69
	s_waitcnt vmcnt(1) lgkmcnt(1)
	v_mul_f32_e32 v2, v1, v9
	v_fma_f32 v37, v8, v0, -v2
	v_mul_f32_e32 v40, v9, v0
	v_fmac_f32_e32 v40, v1, v8
	s_waitcnt lgkmcnt(0)
	v_mul_f32_e32 v0, v7, v11
	v_fma_f32 v41, v6, v10, -v0
	ds_read2_b64 v[0:3], v16 offset0:65 offset1:130
	v_mul_f32_e32 v42, v6, v11
	s_waitcnt vmcnt(0)
	v_mul_f32_e32 v6, v15, v5
	v_fmac_f32_e32 v42, v7, v10
	v_fma_f32 v7, v14, v4, -v6
	v_mul_f32_e32 v9, v15, v4
	s_waitcnt lgkmcnt(0)
	v_mul_f32_e32 v4, v13, v3
	v_fma_f32 v10, v12, v2, -v4
	v_mul_f32_e32 v11, v13, v2
	v_mov_b32_e32 v4, 3
	v_fmac_f32_e32 v11, v12, v3
	v_mad_u32_u24 v2, v18, s4, 0
	v_lshlrev_b32_sdwa v3, v4, v19 dst_sel:DWORD dst_unused:UNUSED_PAD src0_sel:DWORD src1_sel:BYTE_0
	v_add3_u32 v43, v2, v3, v39
	ds_read_b64 v[2:3], v21
	v_fmac_f32_e32 v9, v14, v5
	v_lshlrev_b32_sdwa v4, v4, v24 dst_sel:DWORD dst_unused:UNUSED_PAD src0_sel:DWORD src1_sel:BYTE_0
	v_mad_u32_u24 v5, v23, s4, 0
	v_add3_u32 v23, v5, v4, v39
	v_add_f32_e32 v4, v7, v25
	s_waitcnt lgkmcnt(0)
	v_fma_f32 v4, -0.5, v4, v2
	v_sub_f32_e32 v5, v10, v7
	v_sub_f32_e32 v6, v38, v25
	v_add_f32_e32 v5, v5, v6
	v_sub_f32_e32 v12, v11, v34
	v_mov_b32_e32 v6, v4
	v_fmac_f32_e32 v6, 0x3f737871, v12
	v_sub_f32_e32 v13, v9, v27
	v_fmac_f32_e32 v4, 0xbf737871, v12
	v_fmac_f32_e32 v6, 0x3f167918, v13
	;; [unrolled: 1-line block ×3, first 2 shown]
	v_add_f32_e32 v8, v10, v38
	v_fmac_f32_e32 v6, 0x3e9e377a, v5
	v_fmac_f32_e32 v4, 0x3e9e377a, v5
	v_add_f32_e32 v5, v2, v10
	v_fma_f32 v2, -0.5, v8, v2
	v_sub_f32_e32 v8, v7, v10
	v_sub_f32_e32 v14, v25, v38
	v_add_f32_e32 v14, v8, v14
	v_mov_b32_e32 v8, v2
	v_fmac_f32_e32 v8, 0xbf737871, v13
	v_fmac_f32_e32 v2, 0x3f737871, v13
	;; [unrolled: 1-line block ×4, first 2 shown]
	v_add_f32_e32 v5, v5, v7
	v_add_f32_e32 v12, v3, v11
	;; [unrolled: 1-line block ×8, first 2 shown]
	v_fma_f32 v5, -0.5, v5, v3
	v_sub_f32_e32 v12, v7, v25
	v_sub_f32_e32 v7, v11, v9
	;; [unrolled: 1-line block ×4, first 2 shown]
	v_add_f32_e32 v13, v7, v13
	v_mov_b32_e32 v7, v5
	v_fmac_f32_e32 v7, 0xbf737871, v10
	v_fmac_f32_e32 v5, 0x3f737871, v10
	;; [unrolled: 1-line block ×6, first 2 shown]
	v_add_f32_e32 v13, v11, v34
	v_fmac_f32_e32 v3, -0.5, v13
	v_sub_f32_e32 v9, v9, v11
	v_sub_f32_e32 v11, v27, v34
	v_add_f32_e32 v11, v9, v11
	v_mov_b32_e32 v9, v3
	v_fmac_f32_e32 v9, 0x3f737871, v12
	v_fmac_f32_e32 v3, 0xbf737871, v12
	v_add_f32_e32 v12, v41, v35
	v_fma_f32 v18, -0.5, v12, v0
	v_fmac_f32_e32 v9, 0xbf167918, v10
	v_fmac_f32_e32 v3, 0x3f167918, v10
	v_mov_b32_e32 v12, v18
	v_sub_f32_e32 v13, v40, v36
	v_fmac_f32_e32 v9, 0x3e9e377a, v11
	v_fmac_f32_e32 v3, 0x3e9e377a, v11
	v_sub_f32_e32 v10, v37, v41
	v_sub_f32_e32 v11, v33, v35
	v_fmac_f32_e32 v12, 0x3f737871, v13
	v_sub_f32_e32 v15, v42, v32
	v_fmac_f32_e32 v18, 0xbf737871, v13
	v_add_f32_e32 v11, v10, v11
	v_fmac_f32_e32 v12, 0x3f167918, v15
	v_fmac_f32_e32 v18, 0xbf167918, v15
	;; [unrolled: 1-line block ×4, first 2 shown]
	v_add_f32_e32 v11, v37, v33
	v_fmac_f32_e32 v8, 0x3e9e377a, v14
	v_fmac_f32_e32 v2, 0x3e9e377a, v14
	v_add_f32_e32 v10, v0, v37
	v_fma_f32 v0, -0.5, v11, v0
	v_sub_f32_e32 v11, v41, v37
	v_sub_f32_e32 v14, v35, v33
	v_add_f32_e32 v11, v11, v14
	v_mov_b32_e32 v14, v0
	v_fmac_f32_e32 v14, 0xbf737871, v15
	v_fmac_f32_e32 v0, 0x3f737871, v15
	;; [unrolled: 1-line block ×4, first 2 shown]
	v_add_f32_e32 v13, v42, v32
	v_fma_f32 v19, -0.5, v13, v1
	v_sub_f32_e32 v13, v40, v42
	v_sub_f32_e32 v15, v36, v32
	;; [unrolled: 1-line block ×3, first 2 shown]
	v_add_f32_e32 v15, v13, v15
	v_mov_b32_e32 v13, v19
	v_sub_f32_e32 v25, v41, v35
	v_fmac_f32_e32 v13, 0xbf737871, v24
	v_fmac_f32_e32 v19, 0x3f737871, v24
	v_fmac_f32_e32 v13, 0xbf167918, v25
	v_fmac_f32_e32 v19, 0x3f167918, v25
	v_fmac_f32_e32 v13, 0x3e9e377a, v15
	v_fmac_f32_e32 v19, 0x3e9e377a, v15
	v_add_f32_e32 v15, v40, v36
	v_fmac_f32_e32 v14, 0x3e9e377a, v11
	v_fmac_f32_e32 v0, 0x3e9e377a, v11
	v_add_f32_e32 v11, v1, v40
	v_fmac_f32_e32 v1, -0.5, v15
	v_sub_f32_e32 v15, v42, v40
	v_sub_f32_e32 v27, v32, v36
	v_add_f32_e32 v27, v15, v27
	v_mov_b32_e32 v15, v1
	v_add_f32_e32 v10, v10, v41
	v_add_f32_e32 v11, v11, v42
	v_fmac_f32_e32 v15, 0x3f737871, v25
	v_fmac_f32_e32 v1, 0xbf737871, v25
	v_add_f32_e32 v10, v10, v35
	v_add_f32_e32 v11, v11, v32
	v_fmac_f32_e32 v15, 0xbf167918, v24
	v_fmac_f32_e32 v1, 0x3f167918, v24
	;; [unrolled: 4-line block ×3, first 2 shown]
	s_barrier
	ds_write2_b64 v43, v[30:31], v[6:7] offset1:10
	ds_write2_b64 v43, v[8:9], v[2:3] offset0:20 offset1:30
	ds_write_b64 v43, v[4:5] offset:320
	ds_write2_b64 v23, v[10:11], v[12:13] offset1:10
	ds_write2_b64 v23, v[14:15], v[0:1] offset0:20 offset1:30
	ds_write_b64 v23, v[18:19] offset:320
	s_waitcnt lgkmcnt(0)
	s_barrier
	s_waitcnt lgkmcnt(0)
                                        ; implicit-def: $vgpr25
	s_and_saveexec_b64 s[4:5], vcc
	s_cbranch_execnz .LBB0_13
; %bb.11:
	s_or_b64 exec, exec, s[4:5]
	s_and_b64 s[0:1], s[0:1], vcc
	s_and_saveexec_b64 s[4:5], s[0:1]
	s_cbranch_execnz .LBB0_14
.LBB0_12:
	s_endpgm
.LBB0_13:
	ds_read_b64 v[30:31], v21
	ds_read2_b64 v[6:9], v16 offset0:50 offset1:100
	ds_read2_b64 v[2:5], v16 offset0:150 offset1:200
	;; [unrolled: 1-line block ×6, first 2 shown]
	s_waitcnt lgkmcnt(2)
	v_mov_b32_e32 v1, v17
	v_mov_b32_e32 v0, v16
	s_or_b64 exec, exec, s[4:5]
	s_and_b64 s[0:1], s[0:1], vcc
	s_and_saveexec_b64 s[4:5], s[0:1]
	s_cbranch_execz .LBB0_12
.LBB0_14:
	v_mul_u32_u24_e32 v16, 12, v26
	v_lshlrev_b32_e32 v16, 3, v16
	global_load_dwordx4 v[32:35], v16, s[8:9] offset:400
	global_load_dwordx4 v[36:39], v16, s[8:9] offset:320
	;; [unrolled: 1-line block ×6, first 2 shown]
	s_mov_b32 s0, 0xbf788fa5
	s_mov_b32 s1, 0x3f62ad3f
	;; [unrolled: 1-line block ×6, first 2 shown]
	v_add_co_u32_e32 v28, vcc, s2, v28
	s_waitcnt vmcnt(5) lgkmcnt(0)
	v_mul_f32_e32 v16, v25, v35
	v_mul_f32_e32 v17, v24, v35
	;; [unrolled: 1-line block ×4, first 2 shown]
	s_waitcnt vmcnt(4)
	v_mul_f32_e32 v35, v7, v37
	v_mul_f32_e32 v56, v9, v39
	s_waitcnt vmcnt(1)
	v_mul_f32_e32 v61, v11, v49
	v_fma_f32 v16, v24, v34, -v16
	v_fmac_f32_e32 v33, v23, v32
	v_fma_f32 v23, v6, v36, -v35
	v_mul_f32_e32 v37, v6, v37
	v_mul_f32_e32 v57, v3, v41
	;; [unrolled: 1-line block ×7, first 2 shown]
	v_fmac_f32_e32 v17, v25, v34
	v_fma_f32 v22, v22, v32, -v27
	v_fma_f32 v24, v8, v38, -v56
	;; [unrolled: 1-line block ×3, first 2 shown]
	v_sub_f32_e32 v10, v23, v16
	v_mul_f32_e32 v39, v8, v39
	s_waitcnt vmcnt(0)
	v_mul_f32_e32 v62, v1, v55
	v_mul_f32_e32 v63, v13, v51
	;; [unrolled: 1-line block ×3, first 2 shown]
	v_fmac_f32_e32 v37, v7, v36
	v_fma_f32 v20, v20, v46, -v58
	v_fmac_f32_e32 v47, v21, v46
	v_fmac_f32_e32 v45, v19, v44
	v_fma_f32 v19, v2, v40, -v57
	v_fmac_f32_e32 v49, v11, v48
	v_sub_f32_e32 v11, v24, v22
	v_mul_f32_e32 v46, 0xbe750f2a, v10
	v_mul_f32_e32 v41, v2, v41
	;; [unrolled: 1-line block ×3, first 2 shown]
	v_fmac_f32_e32 v39, v9, v38
	v_fma_f32 v27, v0, v54, -v62
	v_fmac_f32_e32 v51, v13, v50
	v_add_f32_e32 v32, v37, v17
	v_sub_f32_e32 v13, v19, v20
	v_mul_f32_e32 v48, 0x3eedf032, v11
	v_mov_b32_e32 v0, v46
	v_mul_f32_e32 v59, v5, v43
	v_mul_f32_e32 v43, v4, v43
	v_fma_f32 v18, v18, v44, -v60
	v_fmac_f32_e32 v41, v3, v40
	v_fmac_f32_e32 v55, v1, v54
	v_fma_f32 v12, v12, v50, -v63
	v_add_f32_e32 v34, v39, v33
	v_sub_f32_e32 v44, v37, v17
	v_mul_f32_e32 v50, 0xbf29c268, v13
	v_mov_b32_e32 v1, v48
	v_fmac_f32_e32 v0, 0xbf788fa5, v32
	v_fma_f32 v21, v4, v42, -v59
	v_fmac_f32_e32 v43, v5, v42
	v_add_f32_e32 v35, v41, v47
	v_add_f32_e32 v42, v23, v16
	v_mov_b32_e32 v2, v50
	v_fmac_f32_e32 v1, 0x3f62ad3f, v34
	v_add_f32_e32 v0, v31, v0
	v_mul_f32_e32 v56, 0xbe750f2a, v44
	v_sub_f32_e32 v58, v39, v33
	v_mul_f32_e32 v64, v15, v53
	v_mul_f32_e32 v53, v14, v53
	v_fmac_f32_e32 v2, 0xbf3f9e67, v35
	v_add_f32_e32 v0, v0, v1
	v_fma_f32 v1, v42, s0, -v56
	v_add_f32_e32 v57, v24, v22
	v_mul_f32_e32 v59, 0x3eedf032, v58
	v_sub_f32_e32 v61, v41, v47
	v_fma_f32 v14, v14, v52, -v64
	v_fmac_f32_e32 v53, v15, v52
	v_sub_f32_e32 v15, v21, v18
	v_add_f32_e32 v0, v0, v2
	v_add_f32_e32 v1, v30, v1
	v_fma_f32 v2, v57, s1, -v59
	v_add_f32_e32 v60, v19, v20
	v_mul_f32_e32 v62, 0xbf29c268, v61
	v_sub_f32_e32 v64, v43, v45
	v_sub_f32_e32 v38, v25, v27
	v_mul_f32_e32 v52, 0x3f52af12, v15
	v_add_f32_e32 v1, v1, v2
	v_fma_f32 v2, v60, s4, -v62
	v_add_f32_e32 v63, v21, v18
	v_mul_f32_e32 v65, 0x3f52af12, v64
	v_sub_f32_e32 v67, v49, v55
	v_add_f32_e32 v36, v43, v45
	v_mul_f32_e32 v54, 0xbf6f5d39, v38
	v_mov_b32_e32 v3, v52
	v_add_f32_e32 v1, v1, v2
	v_fma_f32 v2, v63, s5, -v65
	v_add_f32_e32 v66, v25, v27
	v_mul_f32_e32 v68, 0xbf6f5d39, v67
	v_sub_f32_e32 v69, v12, v14
	v_add_f32_e32 v40, v49, v55
	v_mov_b32_e32 v4, v54
	v_fmac_f32_e32 v3, 0x3f116cb1, v36
	v_add_f32_e32 v1, v1, v2
	v_fma_f32 v2, v66, s6, -v68
	v_mul_f32_e32 v70, 0x3f7e222b, v69
	v_fmac_f32_e32 v4, 0xbeb58ec6, v40
	v_add_f32_e32 v0, v0, v3
	v_add_f32_e32 v2, v1, v2
	;; [unrolled: 1-line block ×3, first 2 shown]
	v_mov_b32_e32 v1, v70
	v_sub_f32_e32 v73, v51, v53
	v_add_f32_e32 v0, v0, v4
	v_fmac_f32_e32 v1, 0x3df6dbef, v71
	v_add_f32_e32 v72, v12, v14
	v_mul_f32_e32 v74, 0x3f7e222b, v73
	v_add_f32_e32 v1, v0, v1
	v_fma_f32 v0, v72, s7, -v74
	v_mul_f32_e32 v75, 0xbf29c268, v10
	v_add_f32_e32 v0, v2, v0
	v_mov_b32_e32 v2, v75
	v_mul_f32_e32 v76, 0x3f7e222b, v11
	v_fmac_f32_e32 v2, 0xbf3f9e67, v32
	v_mov_b32_e32 v3, v76
	v_add_f32_e32 v2, v31, v2
	v_fmac_f32_e32 v3, 0x3df6dbef, v34
	v_mul_f32_e32 v77, 0xbf52af12, v13
	v_add_f32_e32 v2, v2, v3
	v_mov_b32_e32 v3, v77
	v_fmac_f32_e32 v3, 0x3f116cb1, v35
	v_mul_f32_e32 v78, 0x3e750f2a, v15
	v_add_f32_e32 v2, v2, v3
	v_mov_b32_e32 v3, v78
	v_fmac_f32_e32 v3, 0xbf788fa5, v36
	v_mul_f32_e32 v79, 0x3eedf032, v38
	v_add_f32_e32 v2, v2, v3
	v_mov_b32_e32 v3, v79
	v_fmac_f32_e32 v3, 0x3f62ad3f, v40
	v_mul_f32_e32 v80, 0xbf29c268, v44
	v_add_f32_e32 v2, v2, v3
	v_fma_f32 v3, v42, s4, -v80
	v_mul_f32_e32 v81, 0x3f7e222b, v58
	v_add_f32_e32 v3, v30, v3
	v_fma_f32 v4, v57, s7, -v81
	v_mul_f32_e32 v82, 0xbf52af12, v61
	v_add_f32_e32 v3, v3, v4
	v_fma_f32 v4, v60, s5, -v82
	v_mul_f32_e32 v83, 0x3e750f2a, v64
	v_add_f32_e32 v3, v3, v4
	v_fma_f32 v4, v63, s0, -v83
	v_mul_f32_e32 v84, 0x3eedf032, v67
	v_add_f32_e32 v3, v3, v4
	v_fma_f32 v4, v66, s1, -v84
	v_mul_f32_e32 v85, 0xbf6f5d39, v69
	v_add_f32_e32 v4, v3, v4
	v_mov_b32_e32 v3, v85
	v_fmac_f32_e32 v3, 0xbeb58ec6, v71
	v_mul_f32_e32 v86, 0xbf6f5d39, v73
	v_add_f32_e32 v3, v2, v3
	v_fma_f32 v2, v72, s6, -v86
	v_mul_f32_e32 v87, 0xbf6f5d39, v10
	v_add_f32_e32 v2, v4, v2
	v_mov_b32_e32 v4, v87
	v_mul_f32_e32 v88, 0x3f29c268, v11
	v_fmac_f32_e32 v4, 0xbeb58ec6, v32
	v_mov_b32_e32 v5, v88
	v_add_f32_e32 v4, v31, v4
	v_fmac_f32_e32 v5, 0xbf3f9e67, v34
	v_mul_f32_e32 v89, 0x3eedf032, v13
	v_add_f32_e32 v4, v4, v5
	v_mov_b32_e32 v5, v89
	v_fmac_f32_e32 v5, 0x3f62ad3f, v35
	v_mul_f32_e32 v90, 0xbf7e222b, v15
	v_add_f32_e32 v4, v4, v5
	v_mov_b32_e32 v5, v90
	v_fmac_f32_e32 v5, 0x3df6dbef, v36
	v_mul_f32_e32 v91, 0x3e750f2a, v38
	v_add_f32_e32 v4, v4, v5
	v_mov_b32_e32 v5, v91
	v_fmac_f32_e32 v5, 0xbf788fa5, v40
	v_mul_f32_e32 v92, 0xbf6f5d39, v44
	v_add_f32_e32 v4, v4, v5
	v_fma_f32 v5, v42, s6, -v92
	v_mul_f32_e32 v93, 0x3f29c268, v58
	v_add_f32_e32 v5, v30, v5
	v_fma_f32 v6, v57, s4, -v93
	v_mul_f32_e32 v94, 0x3eedf032, v61
	v_add_f32_e32 v5, v5, v6
	v_fma_f32 v6, v60, s1, -v94
	v_mul_f32_e32 v95, 0xbf7e222b, v64
	v_add_f32_e32 v5, v5, v6
	v_fma_f32 v6, v63, s7, -v95
	v_mul_f32_e32 v96, 0x3e750f2a, v67
	v_add_f32_e32 v5, v5, v6
	v_fma_f32 v6, v66, s0, -v96
	v_mul_f32_e32 v97, 0x3f52af12, v69
	v_add_f32_e32 v6, v5, v6
	v_mov_b32_e32 v5, v97
	v_fmac_f32_e32 v5, 0x3f116cb1, v71
	;; [unrolled: 42-line block ×3, first 2 shown]
	v_mul_f32_e32 v110, 0xbf29c268, v73
	v_add_f32_e32 v7, v6, v7
	v_fma_f32 v6, v72, s4, -v110
	v_mul_f32_e32 v111, 0xbf52af12, v10
	v_add_f32_e32 v6, v8, v6
	v_mov_b32_e32 v8, v111
	v_mul_f32_e32 v112, 0xbf6f5d39, v11
	v_fmac_f32_e32 v8, 0x3f116cb1, v32
	v_mov_b32_e32 v9, v112
	v_add_f32_e32 v8, v31, v8
	v_fmac_f32_e32 v9, 0xbeb58ec6, v34
	v_mul_f32_e32 v113, 0xbe750f2a, v13
	v_add_f32_e32 v8, v8, v9
	v_mov_b32_e32 v9, v113
	v_fmac_f32_e32 v9, 0xbf788fa5, v35
	v_mul_f32_e32 v114, 0x3f29c268, v15
	v_add_f32_e32 v8, v8, v9
	v_mov_b32_e32 v9, v114
	;; [unrolled: 4-line block ×3, first 2 shown]
	v_fmac_f32_e32 v9, 0x3df6dbef, v40
	v_mul_f32_e32 v116, 0xbf52af12, v44
	v_add_f32_e32 v8, v8, v9
	v_fma_f32 v9, v42, s5, -v116
	v_mul_f32_e32 v117, 0xbf6f5d39, v58
	v_add_f32_e32 v9, v30, v9
	v_fma_f32 v118, v57, s6, -v117
	v_add_f32_e32 v9, v9, v118
	v_mul_f32_e32 v118, 0xbe750f2a, v61
	v_fma_f32 v119, v60, s0, -v118
	v_add_f32_e32 v9, v9, v119
	v_mul_f32_e32 v119, 0x3f29c268, v64
	;; [unrolled: 3-line block ×3, first 2 shown]
	v_fma_f32 v121, v66, s7, -v120
	v_mul_f32_e32 v122, 0x3eedf032, v69
	v_add_f32_e32 v121, v9, v121
	v_mov_b32_e32 v9, v122
	v_fmac_f32_e32 v9, 0x3f62ad3f, v71
	v_mul_f32_e32 v123, 0x3eedf032, v73
	v_add_f32_e32 v9, v8, v9
	v_fma_f32 v8, v72, s1, -v123
	v_add_f32_e32 v8, v121, v8
	v_mul_f32_e32 v121, 0xbeedf032, v10
	v_mov_b32_e32 v10, v121
	v_mul_f32_e32 v124, 0xbf52af12, v11
	v_fmac_f32_e32 v10, 0x3f62ad3f, v32
	v_mov_b32_e32 v11, v124
	v_add_f32_e32 v10, v31, v10
	v_fmac_f32_e32 v11, 0x3f116cb1, v34
	v_mul_f32_e32 v125, 0xbf7e222b, v13
	v_add_f32_e32 v10, v10, v11
	v_mov_b32_e32 v11, v125
	v_fmac_f32_e32 v11, 0x3df6dbef, v35
	v_mul_f32_e32 v126, 0xbf6f5d39, v15
	v_add_f32_e32 v10, v10, v11
	v_mov_b32_e32 v11, v126
	;; [unrolled: 4-line block ×3, first 2 shown]
	v_fmac_f32_e32 v11, 0xbf3f9e67, v40
	v_mul_f32_e32 v44, 0xbeedf032, v44
	v_add_f32_e32 v10, v10, v11
	v_fma_f32 v11, v42, s1, -v44
	v_mul_f32_e32 v58, 0xbf52af12, v58
	v_add_f32_e32 v11, v30, v11
	v_fma_f32 v13, v57, s5, -v58
	;; [unrolled: 3-line block ×3, first 2 shown]
	v_mul_f32_e32 v64, 0xbf6f5d39, v64
	v_add_f32_e32 v15, v30, v23
	v_add_f32_e32 v11, v11, v13
	v_fma_f32 v13, v63, s6, -v64
	v_mul_f32_e32 v67, 0xbf29c268, v67
	v_add_f32_e32 v15, v15, v24
	v_add_f32_e32 v11, v11, v13
	v_fma_f32 v13, v66, s4, -v67
	v_mul_f32_e32 v69, 0xbe750f2a, v69
	v_add_f32_e32 v15, v15, v19
	v_add_f32_e32 v13, v11, v13
	v_mov_b32_e32 v11, v69
	v_add_f32_e32 v15, v15, v21
	v_fmac_f32_e32 v11, 0xbf788fa5, v71
	v_mul_f32_e32 v73, 0xbe750f2a, v73
	v_add_f32_e32 v15, v15, v25
	v_add_f32_e32 v11, v10, v11
	v_fma_f32 v10, v72, s0, -v73
	v_add_f32_e32 v12, v15, v12
	v_add_f32_e32 v10, v13, v10
	;; [unrolled: 1-line block ×4, first 2 shown]
	v_fma_f32 v14, v32, s0, -v46
	v_add_f32_e32 v13, v13, v39
	v_add_f32_e32 v14, v31, v14
	v_fma_f32 v15, v34, s1, -v48
	v_add_f32_e32 v13, v13, v41
	v_add_f32_e32 v14, v14, v15
	;; [unrolled: 3-line block ×4, first 2 shown]
	v_fma_f32 v15, v40, s6, -v54
	v_fmac_f32_e32 v56, 0xbf788fa5, v42
	v_add_f32_e32 v13, v13, v51
	v_add_f32_e32 v12, v27, v12
	v_add_f32_e32 v14, v14, v15
	v_add_f32_e32 v15, v30, v56
	v_fmac_f32_e32 v59, 0x3f62ad3f, v57
	v_add_f32_e32 v13, v13, v53
	v_add_f32_e32 v12, v18, v12
	v_add_f32_e32 v15, v15, v59
	v_fmac_f32_e32 v62, 0xbf3f9e67, v60
	v_add_f32_e32 v13, v55, v13
	v_add_f32_e32 v12, v20, v12
	v_add_f32_e32 v15, v15, v62
	;; [unrolled: 4-line block ×4, first 2 shown]
	v_fma_f32 v15, v71, s7, -v70
	v_fmac_f32_e32 v74, 0x3df6dbef, v72
	v_add_f32_e32 v13, v33, v13
	v_add_f32_e32 v15, v14, v15
	;; [unrolled: 1-line block ×3, first 2 shown]
	v_fma_f32 v16, v32, s4, -v75
	v_add_f32_e32 v13, v17, v13
	v_add_f32_e32 v16, v31, v16
	v_fma_f32 v17, v34, s7, -v76
	v_add_f32_e32 v16, v16, v17
	v_fma_f32 v17, v35, s5, -v77
	v_add_f32_e32 v16, v16, v17
	v_fma_f32 v17, v36, s0, -v78
	v_add_f32_e32 v16, v16, v17
	v_fma_f32 v17, v40, s1, -v79
	v_fmac_f32_e32 v80, 0xbf3f9e67, v42
	v_add_f32_e32 v16, v16, v17
	v_add_f32_e32 v17, v30, v80
	v_fmac_f32_e32 v81, 0x3df6dbef, v57
	v_add_f32_e32 v17, v17, v81
	v_fmac_f32_e32 v82, 0x3f116cb1, v60
	v_add_f32_e32 v17, v17, v82
	v_fmac_f32_e32 v83, 0xbf788fa5, v63
	v_add_f32_e32 v17, v17, v83
	v_fmac_f32_e32 v84, 0x3f62ad3f, v66
	v_add_f32_e32 v18, v17, v84
	v_fma_f32 v17, v71, s6, -v85
	v_fmac_f32_e32 v86, 0xbeb58ec6, v72
	v_add_f32_e32 v17, v16, v17
	v_add_f32_e32 v16, v18, v86
	v_fma_f32 v18, v32, s6, -v87
	v_add_f32_e32 v18, v31, v18
	v_fma_f32 v19, v34, s4, -v88
	v_add_f32_e32 v18, v18, v19
	v_fma_f32 v19, v35, s1, -v89
	v_add_f32_e32 v18, v18, v19
	v_fma_f32 v19, v36, s7, -v90
	v_add_f32_e32 v18, v18, v19
	v_fma_f32 v19, v40, s0, -v91
	v_fmac_f32_e32 v92, 0xbeb58ec6, v42
	v_add_f32_e32 v18, v18, v19
	v_add_f32_e32 v19, v30, v92
	v_fmac_f32_e32 v93, 0xbf3f9e67, v57
	v_add_f32_e32 v19, v19, v93
	v_fmac_f32_e32 v94, 0x3f62ad3f, v60
	v_add_f32_e32 v19, v19, v94
	v_fmac_f32_e32 v95, 0x3df6dbef, v63
	v_add_f32_e32 v19, v19, v95
	v_fmac_f32_e32 v96, 0xbf788fa5, v66
	v_add_f32_e32 v20, v19, v96
	v_fma_f32 v19, v71, s5, -v97
	v_fmac_f32_e32 v98, 0x3f116cb1, v72
	v_add_f32_e32 v19, v18, v19
	v_add_f32_e32 v18, v20, v98
	v_fma_f32 v20, v32, s7, -v99
	;; [unrolled: 24-line block ×3, first 2 shown]
	v_fma_f32 v24, v32, s1, -v121
	v_add_f32_e32 v22, v31, v22
	v_fma_f32 v23, v34, s6, -v112
	v_add_f32_e32 v24, v31, v24
	;; [unrolled: 2-line block ×9, first 2 shown]
	v_fma_f32 v23, v71, s1, -v122
	v_fmac_f32_e32 v116, 0x3f116cb1, v42
	v_add_f32_e32 v24, v24, v25
	v_fma_f32 v25, v71, s0, -v69
	v_fmac_f32_e32 v44, 0x3f62ad3f, v42
	v_mov_b32_e32 v27, 0
	v_add_f32_e32 v23, v22, v23
	v_add_f32_e32 v22, v30, v116
	v_fmac_f32_e32 v117, 0xbeb58ec6, v57
	v_add_f32_e32 v25, v24, v25
	v_add_f32_e32 v24, v30, v44
	v_mov_b32_e32 v30, s3
	v_lshlrev_b64 v[26:27], 3, v[26:27]
	v_add_f32_e32 v22, v22, v117
	v_fmac_f32_e32 v118, 0xbf788fa5, v60
	v_fmac_f32_e32 v58, 0x3f116cb1, v57
	v_addc_co_u32_e32 v29, vcc, v30, v29, vcc
	v_add_f32_e32 v22, v22, v118
	v_fmac_f32_e32 v119, 0xbf3f9e67, v63
	v_add_f32_e32 v24, v24, v58
	v_fmac_f32_e32 v61, 0x3df6dbef, v60
	v_add_co_u32_e32 v26, vcc, v28, v26
	v_add_f32_e32 v22, v22, v119
	v_fmac_f32_e32 v120, 0x3df6dbef, v66
	v_add_f32_e32 v24, v24, v61
	v_fmac_f32_e32 v64, 0xbeb58ec6, v63
	v_addc_co_u32_e32 v27, vcc, v29, v27, vcc
	v_add_f32_e32 v22, v22, v120
	v_fmac_f32_e32 v123, 0x3f62ad3f, v72
	v_add_f32_e32 v24, v24, v64
	v_fmac_f32_e32 v67, 0xbf3f9e67, v66
	global_store_dwordx2 v[26:27], v[12:13], off
	global_store_dwordx2 v[26:27], v[10:11], off offset:400
	global_store_dwordx2 v[26:27], v[8:9], off offset:800
	;; [unrolled: 1-line block ×10, first 2 shown]
	v_add_co_u32_e32 v0, vcc, 0x1000, v26
	v_add_f32_e32 v22, v22, v123
	v_add_f32_e32 v24, v24, v67
	v_fmac_f32_e32 v73, 0xbf788fa5, v72
	v_addc_co_u32_e32 v1, vcc, 0, v27, vcc
	v_add_f32_e32 v24, v24, v73
	global_store_dwordx2 v[0:1], v[22:23], off offset:304
	global_store_dwordx2 v[0:1], v[24:25], off offset:704
	s_endpgm
	.section	.rodata,"a",@progbits
	.p2align	6, 0x0
	.amdhsa_kernel fft_rtc_fwd_len650_factors_10_5_13_wgs_195_tpt_65_sp_ip_CI_unitstride_sbrr_dirReg
		.amdhsa_group_segment_fixed_size 0
		.amdhsa_private_segment_fixed_size 0
		.amdhsa_kernarg_size 88
		.amdhsa_user_sgpr_count 6
		.amdhsa_user_sgpr_private_segment_buffer 1
		.amdhsa_user_sgpr_dispatch_ptr 0
		.amdhsa_user_sgpr_queue_ptr 0
		.amdhsa_user_sgpr_kernarg_segment_ptr 1
		.amdhsa_user_sgpr_dispatch_id 0
		.amdhsa_user_sgpr_flat_scratch_init 0
		.amdhsa_user_sgpr_private_segment_size 0
		.amdhsa_uses_dynamic_stack 0
		.amdhsa_system_sgpr_private_segment_wavefront_offset 0
		.amdhsa_system_sgpr_workgroup_id_x 1
		.amdhsa_system_sgpr_workgroup_id_y 0
		.amdhsa_system_sgpr_workgroup_id_z 0
		.amdhsa_system_sgpr_workgroup_info 0
		.amdhsa_system_vgpr_workitem_id 0
		.amdhsa_next_free_vgpr 127
		.amdhsa_next_free_sgpr 22
		.amdhsa_reserve_vcc 1
		.amdhsa_reserve_flat_scratch 0
		.amdhsa_float_round_mode_32 0
		.amdhsa_float_round_mode_16_64 0
		.amdhsa_float_denorm_mode_32 3
		.amdhsa_float_denorm_mode_16_64 3
		.amdhsa_dx10_clamp 1
		.amdhsa_ieee_mode 1
		.amdhsa_fp16_overflow 0
		.amdhsa_exception_fp_ieee_invalid_op 0
		.amdhsa_exception_fp_denorm_src 0
		.amdhsa_exception_fp_ieee_div_zero 0
		.amdhsa_exception_fp_ieee_overflow 0
		.amdhsa_exception_fp_ieee_underflow 0
		.amdhsa_exception_fp_ieee_inexact 0
		.amdhsa_exception_int_div_zero 0
	.end_amdhsa_kernel
	.text
.Lfunc_end0:
	.size	fft_rtc_fwd_len650_factors_10_5_13_wgs_195_tpt_65_sp_ip_CI_unitstride_sbrr_dirReg, .Lfunc_end0-fft_rtc_fwd_len650_factors_10_5_13_wgs_195_tpt_65_sp_ip_CI_unitstride_sbrr_dirReg
                                        ; -- End function
	.section	.AMDGPU.csdata,"",@progbits
; Kernel info:
; codeLenInByte = 6788
; NumSgprs: 26
; NumVgprs: 127
; ScratchSize: 0
; MemoryBound: 0
; FloatMode: 240
; IeeeMode: 1
; LDSByteSize: 0 bytes/workgroup (compile time only)
; SGPRBlocks: 3
; VGPRBlocks: 31
; NumSGPRsForWavesPerEU: 26
; NumVGPRsForWavesPerEU: 127
; Occupancy: 2
; WaveLimiterHint : 1
; COMPUTE_PGM_RSRC2:SCRATCH_EN: 0
; COMPUTE_PGM_RSRC2:USER_SGPR: 6
; COMPUTE_PGM_RSRC2:TRAP_HANDLER: 0
; COMPUTE_PGM_RSRC2:TGID_X_EN: 1
; COMPUTE_PGM_RSRC2:TGID_Y_EN: 0
; COMPUTE_PGM_RSRC2:TGID_Z_EN: 0
; COMPUTE_PGM_RSRC2:TIDIG_COMP_CNT: 0
	.type	__hip_cuid_2582ebfa8dba4dc3,@object ; @__hip_cuid_2582ebfa8dba4dc3
	.section	.bss,"aw",@nobits
	.globl	__hip_cuid_2582ebfa8dba4dc3
__hip_cuid_2582ebfa8dba4dc3:
	.byte	0                               ; 0x0
	.size	__hip_cuid_2582ebfa8dba4dc3, 1

	.ident	"AMD clang version 19.0.0git (https://github.com/RadeonOpenCompute/llvm-project roc-6.4.0 25133 c7fe45cf4b819c5991fe208aaa96edf142730f1d)"
	.section	".note.GNU-stack","",@progbits
	.addrsig
	.addrsig_sym __hip_cuid_2582ebfa8dba4dc3
	.amdgpu_metadata
---
amdhsa.kernels:
  - .args:
      - .actual_access:  read_only
        .address_space:  global
        .offset:         0
        .size:           8
        .value_kind:     global_buffer
      - .offset:         8
        .size:           8
        .value_kind:     by_value
      - .actual_access:  read_only
        .address_space:  global
        .offset:         16
        .size:           8
        .value_kind:     global_buffer
      - .actual_access:  read_only
        .address_space:  global
        .offset:         24
        .size:           8
        .value_kind:     global_buffer
      - .offset:         32
        .size:           8
        .value_kind:     by_value
      - .actual_access:  read_only
        .address_space:  global
        .offset:         40
        .size:           8
        .value_kind:     global_buffer
      - .actual_access:  read_only
        .address_space:  global
        .offset:         48
        .size:           8
        .value_kind:     global_buffer
      - .offset:         56
        .size:           4
        .value_kind:     by_value
      - .actual_access:  read_only
        .address_space:  global
        .offset:         64
        .size:           8
        .value_kind:     global_buffer
      - .actual_access:  read_only
        .address_space:  global
        .offset:         72
        .size:           8
        .value_kind:     global_buffer
      - .address_space:  global
        .offset:         80
        .size:           8
        .value_kind:     global_buffer
    .group_segment_fixed_size: 0
    .kernarg_segment_align: 8
    .kernarg_segment_size: 88
    .language:       OpenCL C
    .language_version:
      - 2
      - 0
    .max_flat_workgroup_size: 195
    .name:           fft_rtc_fwd_len650_factors_10_5_13_wgs_195_tpt_65_sp_ip_CI_unitstride_sbrr_dirReg
    .private_segment_fixed_size: 0
    .sgpr_count:     26
    .sgpr_spill_count: 0
    .symbol:         fft_rtc_fwd_len650_factors_10_5_13_wgs_195_tpt_65_sp_ip_CI_unitstride_sbrr_dirReg.kd
    .uniform_work_group_size: 1
    .uses_dynamic_stack: false
    .vgpr_count:     127
    .vgpr_spill_count: 0
    .wavefront_size: 64
amdhsa.target:   amdgcn-amd-amdhsa--gfx906
amdhsa.version:
  - 1
  - 2
...

	.end_amdgpu_metadata
